;; amdgpu-corpus repo=ROCm/rocFFT kind=compiled arch=gfx906 opt=O3
	.text
	.amdgcn_target "amdgcn-amd-amdhsa--gfx906"
	.amdhsa_code_object_version 6
	.protected	fft_rtc_back_len1296_factors_6_6_6_6_wgs_108_tpt_108_halfLds_sp_op_CI_CI_unitstride_sbrr_dirReg ; -- Begin function fft_rtc_back_len1296_factors_6_6_6_6_wgs_108_tpt_108_halfLds_sp_op_CI_CI_unitstride_sbrr_dirReg
	.globl	fft_rtc_back_len1296_factors_6_6_6_6_wgs_108_tpt_108_halfLds_sp_op_CI_CI_unitstride_sbrr_dirReg
	.p2align	8
	.type	fft_rtc_back_len1296_factors_6_6_6_6_wgs_108_tpt_108_halfLds_sp_op_CI_CI_unitstride_sbrr_dirReg,@function
fft_rtc_back_len1296_factors_6_6_6_6_wgs_108_tpt_108_halfLds_sp_op_CI_CI_unitstride_sbrr_dirReg: ; @fft_rtc_back_len1296_factors_6_6_6_6_wgs_108_tpt_108_halfLds_sp_op_CI_CI_unitstride_sbrr_dirReg
; %bb.0:
	s_load_dwordx4 s[8:11], s[4:5], 0x58
	s_load_dwordx4 s[12:15], s[4:5], 0x0
	;; [unrolled: 1-line block ×3, first 2 shown]
	v_mul_u32_u24_e32 v1, 0x25f, v0
	v_mov_b32_e32 v7, 0
	v_mov_b32_e32 v5, 0
	s_waitcnt lgkmcnt(0)
	v_cmp_lt_u64_e64 s[0:1], s[14:15], 2
	v_add_u32_sdwa v9, s6, v1 dst_sel:DWORD dst_unused:UNUSED_PAD src0_sel:DWORD src1_sel:WORD_1
	v_mov_b32_e32 v10, v7
	s_and_b64 vcc, exec, s[0:1]
	v_mov_b32_e32 v6, 0
	s_cbranch_vccnz .LBB0_8
; %bb.1:
	s_load_dwordx2 s[0:1], s[4:5], 0x10
	s_add_u32 s2, s18, 8
	s_addc_u32 s3, s19, 0
	s_add_u32 s6, s16, 8
	s_addc_u32 s7, s17, 0
	v_mov_b32_e32 v5, 0
	s_waitcnt lgkmcnt(0)
	s_add_u32 s20, s0, 8
	v_mov_b32_e32 v6, 0
	v_mov_b32_e32 v1, v5
	s_addc_u32 s21, s1, 0
	s_mov_b64 s[22:23], 1
	v_mov_b32_e32 v2, v6
.LBB0_2:                                ; =>This Inner Loop Header: Depth=1
	s_load_dwordx2 s[24:25], s[20:21], 0x0
                                        ; implicit-def: $vgpr3_vgpr4
	s_waitcnt lgkmcnt(0)
	v_or_b32_e32 v8, s25, v10
	v_cmp_ne_u64_e32 vcc, 0, v[7:8]
	s_and_saveexec_b64 s[0:1], vcc
	s_xor_b64 s[26:27], exec, s[0:1]
	s_cbranch_execz .LBB0_4
; %bb.3:                                ;   in Loop: Header=BB0_2 Depth=1
	v_cvt_f32_u32_e32 v3, s24
	v_cvt_f32_u32_e32 v4, s25
	s_sub_u32 s0, 0, s24
	s_subb_u32 s1, 0, s25
	v_mac_f32_e32 v3, 0x4f800000, v4
	v_rcp_f32_e32 v3, v3
	v_mul_f32_e32 v3, 0x5f7ffffc, v3
	v_mul_f32_e32 v4, 0x2f800000, v3
	v_trunc_f32_e32 v4, v4
	v_mac_f32_e32 v3, 0xcf800000, v4
	v_cvt_u32_f32_e32 v4, v4
	v_cvt_u32_f32_e32 v3, v3
	v_mul_lo_u32 v8, s0, v4
	v_mul_hi_u32 v11, s0, v3
	v_mul_lo_u32 v13, s1, v3
	v_mul_lo_u32 v12, s0, v3
	v_add_u32_e32 v8, v11, v8
	v_add_u32_e32 v8, v8, v13
	v_mul_hi_u32 v11, v3, v12
	v_mul_lo_u32 v13, v3, v8
	v_mul_hi_u32 v15, v3, v8
	v_mul_hi_u32 v14, v4, v12
	v_mul_lo_u32 v12, v4, v12
	v_mul_hi_u32 v16, v4, v8
	v_add_co_u32_e32 v11, vcc, v11, v13
	v_addc_co_u32_e32 v13, vcc, 0, v15, vcc
	v_mul_lo_u32 v8, v4, v8
	v_add_co_u32_e32 v11, vcc, v11, v12
	v_addc_co_u32_e32 v11, vcc, v13, v14, vcc
	v_addc_co_u32_e32 v12, vcc, 0, v16, vcc
	v_add_co_u32_e32 v8, vcc, v11, v8
	v_addc_co_u32_e32 v11, vcc, 0, v12, vcc
	v_add_co_u32_e32 v3, vcc, v3, v8
	v_addc_co_u32_e32 v4, vcc, v4, v11, vcc
	v_mul_lo_u32 v8, s0, v4
	v_mul_hi_u32 v11, s0, v3
	v_mul_lo_u32 v12, s1, v3
	v_mul_lo_u32 v13, s0, v3
	v_add_u32_e32 v8, v11, v8
	v_add_u32_e32 v8, v8, v12
	v_mul_lo_u32 v14, v3, v8
	v_mul_hi_u32 v15, v3, v13
	v_mul_hi_u32 v16, v3, v8
	v_mul_hi_u32 v12, v4, v13
	v_mul_lo_u32 v13, v4, v13
	v_mul_hi_u32 v11, v4, v8
	v_add_co_u32_e32 v14, vcc, v15, v14
	v_addc_co_u32_e32 v15, vcc, 0, v16, vcc
	v_mul_lo_u32 v8, v4, v8
	v_add_co_u32_e32 v13, vcc, v14, v13
	v_addc_co_u32_e32 v12, vcc, v15, v12, vcc
	v_addc_co_u32_e32 v11, vcc, 0, v11, vcc
	v_add_co_u32_e32 v8, vcc, v12, v8
	v_addc_co_u32_e32 v11, vcc, 0, v11, vcc
	v_add_co_u32_e32 v8, vcc, v3, v8
	v_addc_co_u32_e32 v11, vcc, v4, v11, vcc
	v_mad_u64_u32 v[3:4], s[0:1], v9, v11, 0
	v_mul_hi_u32 v12, v9, v8
	v_add_co_u32_e32 v13, vcc, v12, v3
	v_addc_co_u32_e32 v14, vcc, 0, v4, vcc
	v_mad_u64_u32 v[3:4], s[0:1], v10, v8, 0
	v_mad_u64_u32 v[11:12], s[0:1], v10, v11, 0
	v_add_co_u32_e32 v3, vcc, v13, v3
	v_addc_co_u32_e32 v3, vcc, v14, v4, vcc
	v_addc_co_u32_e32 v4, vcc, 0, v12, vcc
	v_add_co_u32_e32 v8, vcc, v3, v11
	v_addc_co_u32_e32 v11, vcc, 0, v4, vcc
	v_mul_lo_u32 v12, s25, v8
	v_mul_lo_u32 v13, s24, v11
	v_mad_u64_u32 v[3:4], s[0:1], s24, v8, 0
	v_add3_u32 v4, v4, v13, v12
	v_sub_u32_e32 v12, v10, v4
	v_mov_b32_e32 v13, s25
	v_sub_co_u32_e32 v3, vcc, v9, v3
	v_subb_co_u32_e64 v12, s[0:1], v12, v13, vcc
	v_subrev_co_u32_e64 v13, s[0:1], s24, v3
	v_subbrev_co_u32_e64 v12, s[0:1], 0, v12, s[0:1]
	v_cmp_le_u32_e64 s[0:1], s25, v12
	v_cndmask_b32_e64 v14, 0, -1, s[0:1]
	v_cmp_le_u32_e64 s[0:1], s24, v13
	v_cndmask_b32_e64 v13, 0, -1, s[0:1]
	v_cmp_eq_u32_e64 s[0:1], s25, v12
	v_cndmask_b32_e64 v12, v14, v13, s[0:1]
	v_add_co_u32_e64 v13, s[0:1], 2, v8
	v_addc_co_u32_e64 v14, s[0:1], 0, v11, s[0:1]
	v_add_co_u32_e64 v15, s[0:1], 1, v8
	v_addc_co_u32_e64 v16, s[0:1], 0, v11, s[0:1]
	v_subb_co_u32_e32 v4, vcc, v10, v4, vcc
	v_cmp_ne_u32_e64 s[0:1], 0, v12
	v_cmp_le_u32_e32 vcc, s25, v4
	v_cndmask_b32_e64 v12, v16, v14, s[0:1]
	v_cndmask_b32_e64 v14, 0, -1, vcc
	v_cmp_le_u32_e32 vcc, s24, v3
	v_cndmask_b32_e64 v3, 0, -1, vcc
	v_cmp_eq_u32_e32 vcc, s25, v4
	v_cndmask_b32_e32 v3, v14, v3, vcc
	v_cmp_ne_u32_e32 vcc, 0, v3
	v_cndmask_b32_e64 v3, v15, v13, s[0:1]
	v_cndmask_b32_e32 v4, v11, v12, vcc
	v_cndmask_b32_e32 v3, v8, v3, vcc
.LBB0_4:                                ;   in Loop: Header=BB0_2 Depth=1
	s_andn2_saveexec_b64 s[0:1], s[26:27]
	s_cbranch_execz .LBB0_6
; %bb.5:                                ;   in Loop: Header=BB0_2 Depth=1
	v_cvt_f32_u32_e32 v3, s24
	s_sub_i32 s26, 0, s24
	v_rcp_iflag_f32_e32 v3, v3
	v_mul_f32_e32 v3, 0x4f7ffffe, v3
	v_cvt_u32_f32_e32 v3, v3
	v_mul_lo_u32 v4, s26, v3
	v_mul_hi_u32 v4, v3, v4
	v_add_u32_e32 v3, v3, v4
	v_mul_hi_u32 v3, v9, v3
	v_mul_lo_u32 v4, v3, s24
	v_add_u32_e32 v8, 1, v3
	v_sub_u32_e32 v4, v9, v4
	v_subrev_u32_e32 v11, s24, v4
	v_cmp_le_u32_e32 vcc, s24, v4
	v_cndmask_b32_e32 v4, v4, v11, vcc
	v_cndmask_b32_e32 v3, v3, v8, vcc
	v_add_u32_e32 v8, 1, v3
	v_cmp_le_u32_e32 vcc, s24, v4
	v_cndmask_b32_e32 v3, v3, v8, vcc
	v_mov_b32_e32 v4, v7
.LBB0_6:                                ;   in Loop: Header=BB0_2 Depth=1
	s_or_b64 exec, exec, s[0:1]
	v_mul_lo_u32 v8, v4, s24
	v_mul_lo_u32 v13, v3, s25
	v_mad_u64_u32 v[11:12], s[0:1], v3, s24, 0
	s_load_dwordx2 s[0:1], s[6:7], 0x0
	s_load_dwordx2 s[24:25], s[2:3], 0x0
	v_add3_u32 v8, v12, v13, v8
	v_sub_co_u32_e32 v9, vcc, v9, v11
	v_subb_co_u32_e32 v8, vcc, v10, v8, vcc
	s_waitcnt lgkmcnt(0)
	v_mul_lo_u32 v10, s0, v8
	v_mul_lo_u32 v11, s1, v9
	v_mad_u64_u32 v[5:6], s[0:1], s0, v9, v[5:6]
	v_mul_lo_u32 v8, s24, v8
	v_mul_lo_u32 v12, s25, v9
	v_mad_u64_u32 v[1:2], s[0:1], s24, v9, v[1:2]
	s_add_u32 s22, s22, 1
	s_addc_u32 s23, s23, 0
	s_add_u32 s2, s2, 8
	v_add3_u32 v2, v12, v2, v8
	s_addc_u32 s3, s3, 0
	v_mov_b32_e32 v8, s14
	s_add_u32 s6, s6, 8
	v_mov_b32_e32 v9, s15
	s_addc_u32 s7, s7, 0
	v_cmp_ge_u64_e32 vcc, s[22:23], v[8:9]
	s_add_u32 s20, s20, 8
	v_add3_u32 v6, v11, v6, v10
	s_addc_u32 s21, s21, 0
	s_cbranch_vccnz .LBB0_9
; %bb.7:                                ;   in Loop: Header=BB0_2 Depth=1
	v_mov_b32_e32 v10, v4
	v_mov_b32_e32 v9, v3
	s_branch .LBB0_2
.LBB0_8:
	v_mov_b32_e32 v1, v5
	v_mov_b32_e32 v3, v9
	;; [unrolled: 1-line block ×4, first 2 shown]
.LBB0_9:
	s_load_dwordx2 s[0:1], s[4:5], 0x28
	s_lshl_b64 s[6:7], s[14:15], 3
	s_add_u32 s2, s18, s6
	s_addc_u32 s3, s19, s7
                                        ; implicit-def: $vgpr30
	s_waitcnt lgkmcnt(0)
	v_cmp_gt_u64_e32 vcc, s[0:1], v[3:4]
	v_cmp_le_u64_e64 s[0:1], s[0:1], v[3:4]
	s_and_saveexec_b64 s[4:5], s[0:1]
	s_xor_b64 s[0:1], exec, s[4:5]
; %bb.10:
	s_mov_b32 s4, 0x25ed098
	v_mul_hi_u32 v5, v0, s4
	v_mul_u32_u24_e32 v5, 0x6c, v5
	v_sub_u32_e32 v30, v0, v5
                                        ; implicit-def: $vgpr0
                                        ; implicit-def: $vgpr5_vgpr6
; %bb.11:
	s_or_saveexec_b64 s[4:5], s[0:1]
                                        ; implicit-def: $vgpr15
                                        ; implicit-def: $vgpr17
                                        ; implicit-def: $vgpr27
                                        ; implicit-def: $vgpr13
                                        ; implicit-def: $vgpr11
                                        ; implicit-def: $vgpr9
                                        ; implicit-def: $vgpr25
                                        ; implicit-def: $vgpr21
                                        ; implicit-def: $vgpr29
                                        ; implicit-def: $vgpr19
                                        ; implicit-def: $vgpr23
                                        ; implicit-def: $vgpr7
	s_xor_b64 exec, exec, s[4:5]
	s_cbranch_execz .LBB0_13
; %bb.12:
	s_add_u32 s0, s16, s6
	s_addc_u32 s1, s17, s7
	s_load_dwordx2 s[0:1], s[0:1], 0x0
	s_mov_b32 s6, 0x25ed098
	v_mul_hi_u32 v9, v0, s6
	v_lshlrev_b64 v[5:6], 3, v[5:6]
	s_waitcnt lgkmcnt(0)
	v_mul_lo_u32 v10, s1, v3
	v_mul_lo_u32 v11, s0, v4
	v_mad_u64_u32 v[7:8], s[0:1], s0, v3, 0
	v_mul_u32_u24_e32 v9, 0x6c, v9
	v_sub_u32_e32 v30, v0, v9
	v_add3_u32 v8, v8, v11, v10
	v_lshlrev_b64 v[7:8], 3, v[7:8]
	v_mov_b32_e32 v0, s9
	v_add_co_u32_e64 v7, s[0:1], s8, v7
	v_addc_co_u32_e64 v0, s[0:1], v0, v8, s[0:1]
	v_add_co_u32_e64 v5, s[0:1], v7, v5
	v_addc_co_u32_e64 v0, s[0:1], v0, v6, s[0:1]
	v_lshlrev_b32_e32 v6, 3, v30
	v_add_co_u32_e64 v31, s[0:1], v5, v6
	v_addc_co_u32_e64 v32, s[0:1], 0, v0, s[0:1]
	s_movk_i32 s0, 0x1000
	v_add_co_u32_e64 v33, s[0:1], s0, v31
	v_addc_co_u32_e64 v34, s[0:1], 0, v32, s[0:1]
	s_movk_i32 s0, 0x2000
	v_add_co_u32_e64 v35, s[0:1], s0, v31
	global_load_dwordx2 v[6:7], v[31:32], off
	global_load_dwordx2 v[18:19], v[31:32], off offset:3456
	global_load_dwordx2 v[20:21], v[33:34], off offset:2816
	v_addc_co_u32_e64 v36, s[0:1], 0, v32, s[0:1]
	global_load_dwordx2 v[10:11], v[31:32], off offset:2592
	global_load_dwordx2 v[22:23], v[31:32], off offset:1728
	;; [unrolled: 1-line block ×9, first 2 shown]
.LBB0_13:
	s_or_b64 exec, exec, s[4:5]
	s_waitcnt vmcnt(9)
	v_add_f32_e32 v5, v20, v18
	v_add_f32_e32 v0, v18, v6
	v_fmac_f32_e32 v6, -0.5, v5
	v_sub_f32_e32 v5, v19, v21
	v_mov_b32_e32 v33, v6
	s_waitcnt vmcnt(1)
	v_add_f32_e32 v31, v24, v28
	v_fmac_f32_e32 v33, 0xbf5db3d7, v5
	v_fmac_f32_e32 v6, 0x3f5db3d7, v5
	v_add_f32_e32 v5, v28, v22
	v_fmac_f32_e32 v22, -0.5, v31
	v_sub_f32_e32 v31, v29, v25
	v_add_f32_e32 v35, v29, v23
	v_add_f32_e32 v29, v25, v29
	v_fmac_f32_e32 v23, -0.5, v29
	v_sub_f32_e32 v28, v28, v24
	v_mov_b32_e32 v36, v23
	v_mov_b32_e32 v34, v22
	v_fmac_f32_e32 v36, 0x3f5db3d7, v28
	v_fmac_f32_e32 v23, 0xbf5db3d7, v28
	;; [unrolled: 1-line block ×4, first 2 shown]
	v_add_f32_e32 v0, v20, v0
	v_add_f32_e32 v5, v24, v5
	v_mul_f32_e32 v24, 0xbf5db3d7, v36
	v_mul_f32_e32 v37, 0xbf5db3d7, v23
	v_fmac_f32_e32 v24, 0.5, v34
	v_add_f32_e32 v28, v5, v0
	v_fmac_f32_e32 v37, -0.5, v22
	v_sub_f32_e32 v32, v0, v5
	v_mul_u32_u24_e32 v0, 6, v30
	v_add_f32_e32 v29, v33, v24
	v_add_f32_e32 v31, v6, v37
	v_lshl_add_u32 v0, v0, 2, 0
	ds_write2_b64 v0, v[28:29], v[31:32] offset1:1
	s_waitcnt vmcnt(0)
	v_add_f32_e32 v28, v16, v12
	v_add_f32_e32 v5, v12, v8
	v_fmac_f32_e32 v8, -0.5, v28
	v_sub_f32_e32 v28, v13, v17
	v_mov_b32_e32 v31, v8
	v_add_f32_e32 v29, v14, v26
	v_fmac_f32_e32 v31, 0xbf5db3d7, v28
	v_fmac_f32_e32 v8, 0x3f5db3d7, v28
	v_add_f32_e32 v28, v26, v10
	v_fmac_f32_e32 v10, -0.5, v29
	v_sub_f32_e32 v29, v27, v15
	v_add_f32_e32 v47, v27, v11
	v_add_f32_e32 v27, v15, v27
	v_fmac_f32_e32 v11, -0.5, v27
	v_sub_f32_e32 v26, v26, v14
	v_mov_b32_e32 v48, v11
	v_mov_b32_e32 v32, v10
	v_fmac_f32_e32 v48, 0x3f5db3d7, v26
	v_fmac_f32_e32 v11, 0xbf5db3d7, v26
	;; [unrolled: 1-line block ×4, first 2 shown]
	v_add_f32_e32 v5, v16, v5
	v_add_f32_e32 v14, v14, v28
	v_mul_f32_e32 v38, 0xbf5db3d7, v48
	v_mul_f32_e32 v39, 0xbf5db3d7, v11
	v_fmac_f32_e32 v38, 0.5, v32
	v_add_f32_e32 v26, v14, v5
	v_fmac_f32_e32 v39, -0.5, v10
	v_sub_f32_e32 v29, v5, v14
	v_add_f32_e32 v14, v21, v19
	v_add_f32_e32 v27, v31, v38
	;; [unrolled: 1-line block ×3, first 2 shown]
	v_add_u32_e32 v49, 0xa20, v0
	v_add_f32_e32 v5, v19, v7
	v_fmac_f32_e32 v7, -0.5, v14
	ds_write2_b64 v49, v[26:27], v[28:29] offset1:1
	v_sub_f32_e32 v18, v18, v20
	v_add_f32_e32 v19, v21, v5
	v_add_f32_e32 v20, v25, v35
	v_mul_f32_e32 v25, -0.5, v23
	v_mov_b32_e32 v26, v7
	v_mul_f32_e32 v27, 0x3f5db3d7, v34
	v_sub_f32_e32 v5, v33, v24
	v_sub_f32_e32 v6, v6, v37
	v_fmac_f32_e32 v25, 0x3f5db3d7, v22
	v_fmac_f32_e32 v26, 0x3f5db3d7, v18
	;; [unrolled: 1-line block ×3, first 2 shown]
	v_fmac_f32_e32 v27, 0.5, v36
	s_load_dwordx2 s[0:1], s[2:3], 0x0
	ds_write_b64 v0, v[5:6] offset:16
	v_sub_f32_e32 v5, v31, v38
	v_sub_f32_e32 v6, v8, v39
	s_movk_i32 s2, 0xffec
	v_add_f32_e32 v21, v20, v19
	v_add_f32_e32 v22, v26, v27
	v_sub_f32_e32 v24, v19, v20
	v_add_f32_e32 v23, v7, v25
	ds_write_b64 v0, v[5:6] offset:2608
	v_mad_i32_i24 v5, v30, s2, v0
	s_waitcnt lgkmcnt(0)
	s_barrier
	v_add_u32_e32 v8, 0x200, v5
	v_add_u32_e32 v14, 0x600, v5
	;; [unrolled: 1-line block ×5, first 2 shown]
	ds_read2_b32 v[35:36], v5 offset1:108
	ds_read2_b32 v[37:38], v8 offset0:88 offset1:196
	ds_read2_b32 v[39:40], v14 offset0:48 offset1:156
	;; [unrolled: 1-line block ×5, first 2 shown]
	s_waitcnt lgkmcnt(0)
	s_barrier
	ds_write2_b64 v0, v[21:22], v[23:24] offset1:1
	v_add_f32_e32 v21, v13, v9
	v_add_f32_e32 v13, v17, v13
	v_fmac_f32_e32 v9, -0.5, v13
	v_sub_f32_e32 v12, v12, v16
	v_add_f32_e32 v16, v17, v21
	v_mov_b32_e32 v17, v9
	v_mul_f32_e32 v11, -0.5, v11
	v_fmac_f32_e32 v17, 0x3f5db3d7, v12
	v_fmac_f32_e32 v9, 0xbf5db3d7, v12
	v_mul_f32_e32 v12, 0x3f5db3d7, v32
	v_sub_f32_e32 v7, v7, v25
	v_sub_f32_e32 v6, v26, v27
	v_add_f32_e32 v15, v15, v47
	v_fmac_f32_e32 v11, 0x3f5db3d7, v10
	v_fmac_f32_e32 v12, 0.5, v48
	s_movk_i32 s2, 0xab
	v_add_f32_e32 v10, v9, v11
	v_sub_f32_e32 v13, v9, v11
	v_sub_f32_e32 v11, v16, v15
	v_add_f32_e32 v15, v15, v16
	v_add_f32_e32 v16, v17, v12
	v_sub_f32_e32 v12, v17, v12
	ds_write_b64 v0, v[6:7] offset:16
	ds_write2_b64 v49, v[15:16], v[10:11] offset1:1
	ds_write_b64 v0, v[12:13] offset:2608
	v_mul_lo_u16_sdwa v6, v30, s2 dst_sel:DWORD dst_unused:UNUSED_PAD src0_sel:BYTE_0 src1_sel:DWORD
	v_lshrrev_b16_e32 v13, 10, v6
	v_mul_lo_u16_e32 v6, 6, v13
	v_sub_u16_e32 v29, v30, v6
	v_mov_b32_e32 v51, 5
	v_mul_u32_u24_sdwa v6, v29, v51 dst_sel:DWORD dst_unused:UNUSED_PAD src0_sel:BYTE_0 src1_sel:DWORD
	v_lshlrev_b32_e32 v47, 3, v6
	v_add_u32_e32 v17, 0x6c, v30
	s_waitcnt lgkmcnt(0)
	s_barrier
	global_load_dwordx4 v[9:12], v47, s[12:13]
	v_mul_lo_u16_sdwa v6, v17, s2 dst_sel:DWORD dst_unused:UNUSED_PAD src0_sel:BYTE_0 src1_sel:DWORD
	v_lshrrev_b16_e32 v52, 10, v6
	v_mul_lo_u16_e32 v6, 6, v52
	v_sub_u16_e32 v53, v17, v6
	v_mul_u32_u24_sdwa v6, v53, v51 dst_sel:DWORD dst_unused:UNUSED_PAD src0_sel:BYTE_0 src1_sel:DWORD
	v_lshlrev_b32_e32 v48, 3, v6
	global_load_dwordx4 v[21:24], v48, s[12:13]
	global_load_dwordx4 v[25:28], v47, s[12:13] offset:16
	global_load_dwordx4 v[31:34], v48, s[12:13] offset:16
	global_load_dwordx2 v[6:7], v47, s[12:13] offset:32
	global_load_dwordx2 v[15:16], v48, s[12:13] offset:32
	ds_read2_b32 v[47:48], v8 offset0:88 offset1:196
	ds_read2_b32 v[49:50], v14 offset0:48 offset1:156
	s_movk_i32 s2, 0x1000
	s_waitcnt vmcnt(5) lgkmcnt(1)
	v_mul_f32_e32 v54, v47, v10
	v_mul_f32_e32 v10, v37, v10
	v_fmac_f32_e32 v54, v37, v9
	v_fma_f32 v47, v47, v9, -v10
	s_waitcnt lgkmcnt(0)
	v_mul_f32_e32 v37, v49, v12
	v_mul_f32_e32 v9, v39, v12
	v_fmac_f32_e32 v37, v39, v11
	v_fma_f32 v39, v49, v11, -v9
	s_waitcnt vmcnt(4)
	v_mul_f32_e32 v49, v48, v22
	v_mul_f32_e32 v9, v38, v22
	v_fmac_f32_e32 v49, v38, v21
	v_fma_f32 v21, v48, v21, -v9
	ds_read2_b32 v[9:10], v18 offset0:136 offset1:244
	v_mul_f32_e32 v22, v50, v24
	v_mul_f32_e32 v11, v40, v24
	v_fmac_f32_e32 v22, v40, v23
	v_fma_f32 v23, v50, v23, -v11
	ds_read2_b32 v[11:12], v19 offset0:96 offset1:204
	s_waitcnt vmcnt(3) lgkmcnt(1)
	v_mul_f32_e32 v24, v9, v26
	v_mul_f32_e32 v26, v41, v26
	v_fmac_f32_e32 v24, v41, v25
	v_fma_f32 v25, v9, v25, -v26
	v_mul_f32_e32 v9, v43, v28
	s_waitcnt lgkmcnt(0)
	v_mul_f32_e32 v26, v11, v28
	v_fma_f32 v11, v11, v27, -v9
	s_waitcnt vmcnt(2)
	v_mul_f32_e32 v9, v42, v32
	v_fmac_f32_e32 v26, v43, v27
	v_mul_f32_e32 v27, v10, v32
	v_fma_f32 v28, v10, v31, -v9
	ds_read2_b32 v[9:10], v20 offset0:56 offset1:164
	v_mul_f32_e32 v32, v44, v34
	v_fmac_f32_e32 v27, v42, v31
	v_mul_f32_e32 v31, v12, v34
	v_fma_f32 v12, v12, v33, -v32
	s_waitcnt vmcnt(1) lgkmcnt(0)
	v_mul_f32_e32 v32, v9, v7
	v_mul_f32_e32 v7, v45, v7
	v_fmac_f32_e32 v31, v44, v33
	v_fmac_f32_e32 v32, v45, v6
	v_fma_f32 v9, v9, v6, -v7
	s_waitcnt vmcnt(0)
	v_mul_f32_e32 v33, v10, v16
	v_mul_f32_e32 v6, v46, v16
	v_fmac_f32_e32 v33, v46, v15
	v_fma_f32 v10, v10, v15, -v6
	v_add_f32_e32 v6, v22, v31
	v_add_f32_e32 v15, v36, v22
	v_fmac_f32_e32 v36, -0.5, v6
	v_add_f32_e32 v6, v27, v33
	v_add_f32_e32 v16, v49, v27
	v_fmac_f32_e32 v49, -0.5, v6
	;; [unrolled: 3-line block ×3, first 2 shown]
	v_sub_f32_e32 v27, v27, v33
	v_add_f32_e32 v6, v37, v26
	v_sub_f32_e32 v28, v28, v10
	v_mov_b32_e32 v46, v21
	v_fmac_f32_e32 v21, 0xbf5db3d7, v27
	v_fma_f32 v38, -0.5, v6, v35
	v_sub_f32_e32 v40, v23, v12
	v_mov_b32_e32 v45, v49
	v_fmac_f32_e32 v49, 0x3f5db3d7, v28
	v_mul_f32_e32 v6, 0xbf5db3d7, v21
	v_mov_b32_e32 v41, v36
	v_fmac_f32_e32 v36, 0x3f5db3d7, v40
	v_fmac_f32_e32 v6, -0.5, v49
	v_add_f32_e32 v42, v36, v6
	v_sub_f32_e32 v36, v36, v6
	v_add_f32_e32 v6, v35, v37
	v_add_f32_e32 v35, v24, v32
	;; [unrolled: 1-line block ×4, first 2 shown]
	v_fmac_f32_e32 v54, -0.5, v35
	v_add_f32_e32 v35, v47, v25
	v_fmac_f32_e32 v47, -0.5, v43
	v_sub_f32_e32 v24, v24, v32
	v_sub_f32_e32 v25, v25, v9
	v_mov_b32_e32 v50, v54
	v_mov_b32_e32 v55, v47
	v_fmac_f32_e32 v47, 0xbf5db3d7, v24
	v_add_f32_e32 v43, v7, v32
	v_mul_u32_u24_e32 v7, 0x90, v13
	v_mov_b32_e32 v13, 2
	v_sub_f32_e32 v44, v39, v11
	v_fmac_f32_e32 v50, 0xbf5db3d7, v25
	v_fmac_f32_e32 v55, 0x3f5db3d7, v24
	;; [unrolled: 1-line block ×3, first 2 shown]
	v_mul_f32_e32 v25, 0xbf5db3d7, v47
	v_lshlrev_b32_sdwa v29, v13, v29 dst_sel:DWORD dst_unused:UNUSED_PAD src0_sel:DWORD src1_sel:BYTE_0
	v_add_f32_e32 v32, v6, v26
	v_mov_b32_e32 v48, v38
	v_mul_f32_e32 v56, 0xbf5db3d7, v55
	v_fmac_f32_e32 v38, 0x3f5db3d7, v44
	v_fmac_f32_e32 v25, -0.5, v54
	v_add3_u32 v29, 0, v7, v29
	v_fmac_f32_e32 v48, 0xbf5db3d7, v44
	v_fmac_f32_e32 v56, 0.5, v50
	v_add_f32_e32 v57, v32, v43
	v_sub_f32_e32 v24, v32, v43
	v_add_f32_e32 v32, v38, v25
	ds_read2_b32 v[6:7], v5 offset1:108
	s_waitcnt lgkmcnt(0)
	s_barrier
	ds_write2_b32 v29, v32, v24 offset0:12 offset1:18
	v_sub_f32_e32 v24, v48, v56
	v_sub_f32_e32 v25, v38, v25
	ds_write2_b32 v29, v24, v25 offset0:24 offset1:30
	v_fmac_f32_e32 v46, 0x3f5db3d7, v27
	v_mul_u32_u24_e32 v24, 0x90, v52
	v_lshlrev_b32_sdwa v25, v13, v53 dst_sel:DWORD dst_unused:UNUSED_PAD src0_sel:DWORD src1_sel:BYTE_0
	v_add_f32_e32 v16, v16, v33
	v_fmac_f32_e32 v45, 0xbf5db3d7, v28
	v_add3_u32 v24, 0, v24, v25
	v_add_f32_e32 v15, v15, v31
	v_mul_f32_e32 v25, 0xbf5db3d7, v46
	v_add_f32_e32 v58, v48, v56
	v_fmac_f32_e32 v41, 0xbf5db3d7, v40
	v_fmac_f32_e32 v25, 0.5, v45
	v_add_f32_e32 v27, v15, v16
	v_sub_f32_e32 v15, v15, v16
	ds_write2_b32 v29, v57, v58 offset1:6
	ds_write2_b32 v24, v42, v15 offset0:12 offset1:18
	v_sub_f32_e32 v15, v41, v25
	ds_write2_b32 v24, v15, v36 offset0:24 offset1:30
	v_add_f32_e32 v15, v6, v39
	v_add_f32_e32 v28, v41, v25
	;; [unrolled: 1-line block ×4, first 2 shown]
	v_fma_f32 v6, -0.5, v11, v6
	v_sub_f32_e32 v26, v37, v26
	v_mov_b32_e32 v11, v6
	v_fmac_f32_e32 v11, 0x3f5db3d7, v26
	v_fmac_f32_e32 v6, 0xbf5db3d7, v26
	v_mul_f32_e32 v26, -0.5, v47
	ds_write2_b32 v24, v27, v28 offset1:6
	v_add_f32_e32 v9, v35, v9
	v_mul_f32_e32 v27, 0.5, v55
	v_fmac_f32_e32 v26, 0x3f5db3d7, v54
	v_fmac_f32_e32 v27, 0x3f5db3d7, v50
	v_add_f32_e32 v28, v25, v9
	v_sub_f32_e32 v9, v25, v9
	v_add_f32_e32 v25, v6, v26
	s_waitcnt lgkmcnt(0)
	s_barrier
	ds_read2_b32 v[15:16], v5 offset1:108
	ds_read2_b32 v[35:36], v8 offset0:88 offset1:196
	ds_read2_b32 v[37:38], v14 offset0:48 offset1:156
	;; [unrolled: 1-line block ×5, first 2 shown]
	s_waitcnt lgkmcnt(0)
	s_barrier
	ds_write2_b32 v29, v25, v9 offset0:12 offset1:18
	v_sub_f32_e32 v9, v11, v27
	v_sub_f32_e32 v6, v6, v26
	ds_write2_b32 v29, v9, v6 offset0:24 offset1:30
	v_add_f32_e32 v9, v23, v12
	v_add_f32_e32 v6, v7, v23
	v_fmac_f32_e32 v7, -0.5, v9
	v_add_f32_e32 v32, v11, v27
	v_sub_f32_e32 v9, v22, v31
	v_mul_f32_e32 v11, -0.5, v21
	v_mov_b32_e32 v21, v7
	v_fmac_f32_e32 v7, 0xbf5db3d7, v9
	v_fmac_f32_e32 v21, 0x3f5db3d7, v9
	v_add_f32_e32 v9, v34, v10
	v_mul_f32_e32 v10, 0.5, v46
	v_fmac_f32_e32 v11, 0x3f5db3d7, v49
	v_add_f32_e32 v6, v6, v12
	v_fmac_f32_e32 v10, 0x3f5db3d7, v45
	v_add_f32_e32 v22, v7, v11
	v_sub_f32_e32 v7, v7, v11
	v_add_f32_e32 v11, v6, v9
	v_add_f32_e32 v12, v21, v10
	v_sub_f32_e32 v6, v6, v9
	ds_write2_b32 v29, v28, v32 offset1:6
	ds_write2_b32 v24, v11, v12 offset1:6
	v_sub_f32_e32 v9, v21, v10
	ds_write2_b32 v24, v22, v6 offset0:12 offset1:18
	ds_write2_b32 v24, v9, v7 offset0:24 offset1:30
	v_mov_b32_e32 v6, 57
	v_mul_lo_u16_sdwa v7, v30, v6 dst_sel:DWORD dst_unused:UNUSED_PAD src0_sel:BYTE_0 src1_sel:DWORD
	v_lshrrev_b16_e32 v29, 11, v7
	v_mul_lo_u16_e32 v7, 36, v29
	v_sub_u16_e32 v52, v30, v7
	v_mul_u32_u24_sdwa v7, v52, v51 dst_sel:DWORD dst_unused:UNUSED_PAD src0_sel:BYTE_0 src1_sel:DWORD
	v_lshlrev_b32_e32 v47, 3, v7
	s_waitcnt lgkmcnt(0)
	s_barrier
	global_load_dwordx4 v[9:12], v47, s[12:13] offset:240
	v_mul_lo_u16_sdwa v6, v17, v6 dst_sel:DWORD dst_unused:UNUSED_PAD src0_sel:BYTE_0 src1_sel:DWORD
	v_lshrrev_b16_e32 v53, 11, v6
	v_mul_lo_u16_e32 v6, 36, v53
	v_sub_u16_e32 v54, v17, v6
	v_mul_u32_u24_sdwa v6, v54, v51 dst_sel:DWORD dst_unused:UNUSED_PAD src0_sel:BYTE_0 src1_sel:DWORD
	v_lshlrev_b32_e32 v48, 3, v6
	global_load_dwordx4 v[21:24], v48, s[12:13] offset:240
	global_load_dwordx4 v[25:28], v47, s[12:13] offset:256
	;; [unrolled: 1-line block ×3, first 2 shown]
	global_load_dwordx2 v[6:7], v47, s[12:13] offset:272
	global_load_dwordx2 v[45:46], v48, s[12:13] offset:272
	ds_read2_b32 v[47:48], v8 offset0:88 offset1:196
	ds_read2_b32 v[49:50], v14 offset0:48 offset1:156
	s_waitcnt vmcnt(5) lgkmcnt(1)
	v_mul_f32_e32 v51, v47, v10
	v_mul_f32_e32 v10, v35, v10
	v_fmac_f32_e32 v51, v35, v9
	v_fma_f32 v35, v47, v9, -v10
	s_waitcnt lgkmcnt(0)
	v_mul_f32_e32 v47, v49, v12
	v_mul_f32_e32 v9, v37, v12
	v_fmac_f32_e32 v47, v37, v11
	v_fma_f32 v37, v49, v11, -v9
	s_waitcnt vmcnt(4)
	v_mul_f32_e32 v49, v48, v22
	v_mul_f32_e32 v9, v36, v22
	v_fmac_f32_e32 v49, v36, v21
	v_fma_f32 v21, v48, v21, -v9
	ds_read2_b32 v[9:10], v18 offset0:136 offset1:244
	v_mul_f32_e32 v22, v50, v24
	v_mul_f32_e32 v11, v38, v24
	v_fmac_f32_e32 v22, v38, v23
	v_fma_f32 v23, v50, v23, -v11
	ds_read2_b32 v[11:12], v19 offset0:96 offset1:204
	s_waitcnt vmcnt(3) lgkmcnt(1)
	v_mul_f32_e32 v24, v9, v26
	v_mul_f32_e32 v26, v39, v26
	v_fmac_f32_e32 v24, v39, v25
	v_fma_f32 v25, v9, v25, -v26
	v_mul_f32_e32 v9, v41, v28
	s_waitcnt lgkmcnt(0)
	v_mul_f32_e32 v26, v11, v28
	v_fma_f32 v11, v11, v27, -v9
	s_waitcnt vmcnt(2)
	v_mul_f32_e32 v9, v40, v32
	v_fmac_f32_e32 v26, v41, v27
	v_mul_f32_e32 v27, v10, v32
	v_fma_f32 v28, v10, v31, -v9
	ds_read2_b32 v[9:10], v20 offset0:56 offset1:164
	v_mul_f32_e32 v32, v42, v34
	v_fmac_f32_e32 v27, v40, v31
	v_mul_f32_e32 v31, v12, v34
	v_fma_f32 v32, v12, v33, -v32
	s_waitcnt vmcnt(1) lgkmcnt(0)
	v_mul_f32_e32 v12, v9, v7
	v_mul_f32_e32 v7, v43, v7
	v_fmac_f32_e32 v31, v42, v33
	v_fmac_f32_e32 v12, v43, v6
	v_fma_f32 v9, v9, v6, -v7
	s_waitcnt vmcnt(0)
	v_mul_f32_e32 v33, v10, v46
	v_mul_f32_e32 v6, v44, v46
	v_fmac_f32_e32 v33, v44, v45
	v_fma_f32 v34, v10, v45, -v6
	v_add_f32_e32 v6, v22, v31
	v_add_f32_e32 v10, v16, v22
	v_fmac_f32_e32 v16, -0.5, v6
	v_add_f32_e32 v6, v27, v33
	v_add_f32_e32 v36, v49, v27
	v_fmac_f32_e32 v49, -0.5, v6
	v_add_f32_e32 v6, v28, v34
	v_add_f32_e32 v38, v21, v28
	v_fmac_f32_e32 v21, -0.5, v6
	v_add_f32_e32 v6, v47, v26
	v_fma_f32 v39, -0.5, v6, v15
	ds_read2_b32 v[6:7], v5 offset1:108
	v_sub_f32_e32 v27, v27, v33
	v_sub_f32_e32 v28, v28, v34
	v_mov_b32_e32 v43, v21
	v_fmac_f32_e32 v21, 0xbf5db3d7, v27
	v_sub_f32_e32 v40, v23, v32
	v_mov_b32_e32 v42, v49
	v_fmac_f32_e32 v49, 0x3f5db3d7, v28
	v_mul_f32_e32 v44, 0xbf5db3d7, v21
	v_mov_b32_e32 v41, v16
	v_fmac_f32_e32 v16, 0x3f5db3d7, v40
	v_fmac_f32_e32 v44, -0.5, v49
	v_add_f32_e32 v45, v16, v44
	v_sub_f32_e32 v16, v16, v44
	s_waitcnt lgkmcnt(0)
	v_add_f32_e32 v44, v7, v23
	v_add_f32_e32 v23, v23, v32
	v_fmac_f32_e32 v7, -0.5, v23
	v_mul_f32_e32 v21, -0.5, v21
	v_sub_f32_e32 v22, v22, v31
	v_fmac_f32_e32 v21, 0x3f5db3d7, v49
	v_mov_b32_e32 v46, v7
	v_fmac_f32_e32 v7, 0xbf5db3d7, v22
	v_add_f32_e32 v48, v7, v21
	v_sub_f32_e32 v21, v7, v21
	v_add_f32_e32 v7, v51, v24
	v_add_f32_e32 v49, v24, v12
	;; [unrolled: 1-line block ×3, first 2 shown]
	v_fmac_f32_e32 v51, -0.5, v49
	v_add_f32_e32 v49, v35, v25
	v_fmac_f32_e32 v35, -0.5, v50
	v_add_f32_e32 v7, v7, v12
	v_sub_f32_e32 v12, v24, v12
	v_mul_u32_u24_e32 v24, 0x360, v29
	v_lshlrev_b32_sdwa v29, v13, v52 dst_sel:DWORD dst_unused:UNUSED_PAD src0_sel:DWORD src1_sel:BYTE_0
	v_sub_f32_e32 v25, v25, v9
	v_mov_b32_e32 v52, v35
	v_fmac_f32_e32 v35, 0xbf5db3d7, v12
	v_add_f32_e32 v15, v15, v47
	v_add_f32_e32 v23, v37, v11
	v_add3_u32 v24, 0, v24, v29
	v_sub_f32_e32 v29, v37, v11
	v_mov_b32_e32 v50, v51
	v_fmac_f32_e32 v52, 0x3f5db3d7, v12
	v_fmac_f32_e32 v51, 0x3f5db3d7, v25
	v_mul_f32_e32 v12, 0xbf5db3d7, v35
	v_fma_f32 v23, -0.5, v23, v6
	v_add_f32_e32 v6, v6, v37
	v_add_f32_e32 v15, v15, v26
	v_mov_b32_e32 v37, v39
	v_fmac_f32_e32 v50, 0xbf5db3d7, v25
	v_mul_f32_e32 v55, 0xbf5db3d7, v52
	v_fmac_f32_e32 v39, 0x3f5db3d7, v29
	v_fmac_f32_e32 v12, -0.5, v51
	v_fmac_f32_e32 v37, 0xbf5db3d7, v29
	v_fmac_f32_e32 v55, 0.5, v50
	v_add_f32_e32 v56, v15, v7
	v_sub_f32_e32 v7, v15, v7
	v_add_f32_e32 v15, v39, v12
	s_barrier
	ds_write2_b32 v24, v15, v7 offset0:72 offset1:108
	v_sub_f32_e32 v7, v37, v55
	v_sub_f32_e32 v12, v39, v12
	ds_write2_b32 v24, v7, v12 offset0:144 offset1:180
	v_fmac_f32_e32 v43, 0x3f5db3d7, v27
	v_lshlrev_b32_sdwa v12, v13, v54 dst_sel:DWORD dst_unused:UNUSED_PAD src0_sel:DWORD src1_sel:BYTE_0
	v_mul_u32_u24_e32 v13, 0x360, v53
	v_add_f32_e32 v7, v10, v31
	v_add_f32_e32 v10, v36, v33
	v_fmac_f32_e32 v42, 0xbf5db3d7, v28
	v_add3_u32 v25, 0, v13, v12
	v_mul_f32_e32 v12, 0xbf5db3d7, v43
	v_add_f32_e32 v57, v37, v55
	v_fmac_f32_e32 v41, 0xbf5db3d7, v40
	v_fmac_f32_e32 v12, 0.5, v42
	v_add_f32_e32 v13, v7, v10
	v_sub_f32_e32 v7, v7, v10
	ds_write2_b32 v24, v56, v57 offset1:36
	v_add_f32_e32 v15, v41, v12
	ds_write2_b32 v25, v45, v7 offset0:72 offset1:108
	v_sub_f32_e32 v7, v41, v12
	ds_write2_b32 v25, v13, v15 offset1:36
	ds_write2_b32 v25, v7, v16 offset0:144 offset1:180
	v_add_f32_e32 v27, v6, v11
	v_add_f32_e32 v28, v49, v9
	s_waitcnt lgkmcnt(0)
	s_barrier
	ds_read2_b32 v[5:6], v5 offset1:108
	ds_read2_b32 v[7:8], v8 offset0:88 offset1:196
	ds_read2_b32 v[15:16], v14 offset0:48 offset1:156
	ds_read2_b32 v[9:10], v18 offset0:136 offset1:244
	ds_read2_b32 v[13:14], v19 offset0:96 offset1:204
	ds_read2_b32 v[11:12], v20 offset0:56 offset1:164
	v_sub_f32_e32 v26, v47, v26
	v_mul_f32_e32 v29, 0.5, v52
	v_mov_b32_e32 v31, v23
	v_fmac_f32_e32 v29, 0x3f5db3d7, v50
	v_fmac_f32_e32 v31, 0x3f5db3d7, v26
	v_add_f32_e32 v18, v27, v28
	v_add_f32_e32 v19, v31, v29
	s_waitcnt lgkmcnt(0)
	s_barrier
	ds_write2_b32 v24, v18, v19 offset1:36
	v_mul_f32_e32 v18, -0.5, v35
	v_fmac_f32_e32 v23, 0xbf5db3d7, v26
	v_fmac_f32_e32 v18, 0x3f5db3d7, v51
	v_sub_f32_e32 v19, v27, v28
	v_mul_f32_e32 v27, 0.5, v43
	v_add_f32_e32 v26, v23, v18
	v_sub_f32_e32 v18, v23, v18
	v_add_f32_e32 v23, v44, v32
	v_fmac_f32_e32 v46, 0x3f5db3d7, v22
	v_add_f32_e32 v22, v38, v34
	v_fmac_f32_e32 v27, 0x3f5db3d7, v42
	v_sub_f32_e32 v20, v31, v29
	v_add_f32_e32 v28, v23, v22
	v_sub_f32_e32 v22, v23, v22
	v_add_f32_e32 v23, v46, v27
	v_sub_f32_e32 v27, v46, v27
	ds_write2_b32 v24, v26, v19 offset0:72 offset1:108
	ds_write2_b32 v24, v20, v18 offset0:144 offset1:180
	ds_write2_b32 v25, v28, v23 offset1:36
	ds_write2_b32 v25, v48, v22 offset0:72 offset1:108
	ds_write2_b32 v25, v27, v21 offset0:144 offset1:180
	s_waitcnt lgkmcnt(0)
	s_barrier
	s_and_saveexec_b64 s[4:5], vcc
	s_cbranch_execz .LBB0_15
; %bb.14:
	v_mul_u32_u24_e32 v17, 5, v17
	v_lshlrev_b32_e32 v25, 3, v17
	global_load_dwordx4 v[17:20], v25, s[12:13] offset:1680
	global_load_dwordx4 v[21:24], v25, s[12:13] offset:1696
	global_load_dwordx2 v[35:36], v25, s[12:13] offset:1712
	v_mul_i32_i24_e32 v25, 0xffffffec, v30
	v_mul_u32_u24_e32 v26, 5, v30
	v_add_u32_e32 v0, v0, v25
	v_lshlrev_b32_e32 v41, 3, v26
	ds_read2_b32 v[37:38], v0 offset1:108
	global_load_dwordx4 v[25:28], v41, s[12:13] offset:1680
	global_load_dwordx2 v[39:40], v41, s[12:13] offset:1712
	global_load_dwordx4 v[31:34], v41, s[12:13] offset:1696
	v_add_u32_e32 v42, 0x600, v0
	v_add_u32_e32 v43, 0xc00, v0
	;; [unrolled: 1-line block ×4, first 2 shown]
	v_mul_lo_u32 v29, s1, v3
	v_mul_lo_u32 v51, s0, v4
	v_mad_u64_u32 v[3:4], s[0:1], s0, v3, 0
	v_add_u32_e32 v0, 0x1000, v0
	ds_read2_b32 v[41:42], v42 offset0:48 offset1:156
	ds_read2_b32 v[43:44], v43 offset0:96 offset1:204
	ds_read2_b32 v[45:46], v45 offset0:88 offset1:196
	ds_read2_b32 v[47:48], v47 offset0:136 offset1:244
	ds_read2_b32 v[49:50], v0 offset0:56 offset1:164
	v_add3_u32 v4, v4, v51, v29
	s_mov_b32 s0, 0x97b425f
	s_movk_i32 s1, 0xd8
	v_lshlrev_b64 v[3:4], 3, v[3:4]
	v_add_co_u32_e32 v3, vcc, s10, v3
	s_waitcnt vmcnt(5)
	v_mul_f32_e32 v0, v16, v20
	s_waitcnt vmcnt(4)
	v_mul_f32_e32 v29, v14, v24
	s_waitcnt lgkmcnt(4)
	v_mul_f32_e32 v20, v42, v20
	s_waitcnt lgkmcnt(3)
	v_mul_f32_e32 v24, v44, v24
	v_mul_f32_e32 v52, v10, v21
	s_waitcnt vmcnt(3)
	v_mul_f32_e32 v53, v12, v35
	v_mul_f32_e32 v10, v10, v22
	;; [unrolled: 1-line block ×5, first 2 shown]
	v_fmac_f32_e32 v20, v16, v19
	v_fmac_f32_e32 v24, v14, v23
	s_waitcnt lgkmcnt(1)
	v_fma_f32 v10, v48, v21, -v10
	s_waitcnt lgkmcnt(0)
	v_fma_f32 v12, v50, v35, -v12
	v_fma_f32 v0, v42, v19, -v0
	;; [unrolled: 1-line block ×3, first 2 shown]
	v_fmac_f32_e32 v52, v48, v22
	v_fmac_f32_e32 v53, v50, v36
	v_fma_f32 v8, v46, v17, -v8
	v_add_f32_e32 v19, v10, v12
	v_add_f32_e32 v23, v20, v24
	v_fmac_f32_e32 v51, v46, v18
	v_sub_f32_e32 v16, v20, v24
	v_add_f32_e32 v17, v52, v53
	v_sub_f32_e32 v18, v10, v12
	v_sub_f32_e32 v21, v52, v53
	v_add_f32_e32 v10, v8, v10
	v_add_f32_e32 v20, v6, v20
	v_fma_f32 v8, -0.5, v19, v8
	v_fma_f32 v6, -0.5, v23, v6
	v_add_f32_e32 v14, v0, v29
	v_add_f32_e32 v22, v38, v0
	v_sub_f32_e32 v0, v0, v29
	v_fma_f32 v35, -0.5, v17, v51
	v_add_f32_e32 v10, v10, v12
	v_add_f32_e32 v12, v20, v24
	v_mov_b32_e32 v19, v8
	v_fmac_f32_e32 v8, 0x3f5db3d7, v21
	v_mov_b32_e32 v24, v6
	v_mov_b32_e32 v20, v35
	v_fmac_f32_e32 v35, 0xbf5db3d7, v18
	v_fmac_f32_e32 v6, 0xbf5db3d7, v0
	;; [unrolled: 1-line block ×3, first 2 shown]
	v_mul_f32_e32 v0, 0xbf5db3d7, v8
	v_fma_f32 v14, -0.5, v14, v38
	v_add_f32_e32 v22, v22, v29
	v_fmac_f32_e32 v19, 0xbf5db3d7, v21
	v_mul_f32_e32 v29, 0.5, v8
	v_fmac_f32_e32 v0, 0.5, v35
	v_mov_b32_e32 v23, v14
	v_fmac_f32_e32 v20, 0x3f5db3d7, v18
	v_mul_f32_e32 v8, -0.5, v19
	v_fmac_f32_e32 v29, 0x3f5db3d7, v35
	v_sub_f32_e32 v18, v6, v0
	v_add_f32_e32 v35, v6, v0
	s_waitcnt vmcnt(2)
	v_mul_f32_e32 v0, v15, v28
	s_waitcnt vmcnt(0)
	v_mul_f32_e32 v6, v13, v34
	v_fmac_f32_e32 v14, 0x3f5db3d7, v16
	v_fmac_f32_e32 v23, 0xbf5db3d7, v16
	v_mul_f32_e32 v38, 0xbf5db3d7, v19
	v_fmac_f32_e32 v8, 0x3f5db3d7, v20
	v_add_f32_e32 v16, v51, v52
	v_fma_f32 v0, v41, v27, -v0
	v_fma_f32 v6, v43, v33, -v6
	v_sub_f32_e32 v17, v22, v10
	v_sub_f32_e32 v19, v14, v29
	v_fmac_f32_e32 v38, -0.5, v20
	v_sub_f32_e32 v21, v23, v8
	v_add_f32_e32 v42, v16, v53
	v_add_f32_e32 v23, v23, v8
	;; [unrolled: 1-line block ×5, first 2 shown]
	v_mul_f32_e32 v10, v41, v28
	v_mul_f32_e32 v14, v43, v34
	v_sub_f32_e32 v20, v24, v38
	v_sub_f32_e32 v16, v12, v42
	v_add_f32_e32 v22, v24, v38
	v_add_f32_e32 v50, v12, v42
	v_fma_f32 v12, -0.5, v8, v37
	v_fmac_f32_e32 v10, v15, v27
	v_fmac_f32_e32 v14, v13, v33
	v_mul_f32_e32 v24, v9, v31
	v_mul_f32_e32 v9, v9, v32
	v_sub_f32_e32 v8, v10, v14
	v_mov_b32_e32 v13, v12
	v_mul_f32_e32 v15, v7, v25
	v_fma_f32 v29, v47, v31, -v9
	v_mul_f32_e32 v9, v11, v40
	v_mul_f32_e32 v7, v7, v26
	v_fmac_f32_e32 v13, 0xbf5db3d7, v8
	v_mul_f32_e32 v27, v11, v39
	v_fma_f32 v11, v49, v39, -v9
	v_fma_f32 v25, v45, v25, -v7
	v_fmac_f32_e32 v12, 0x3f5db3d7, v8
	v_add_f32_e32 v8, v37, v0
	v_add_f32_e32 v7, v29, v11
	;; [unrolled: 1-line block ×4, first 2 shown]
	v_fmac_f32_e32 v15, v45, v26
	v_fma_f32 v26, -0.5, v7, v25
	v_add_f32_e32 v25, v8, v11
	v_add_f32_e32 v8, v10, v14
	v_sub_f32_e32 v9, v29, v11
	v_fma_f32 v29, -0.5, v8, v5
	v_add_f32_e32 v5, v5, v10
	v_add_f32_e32 v5, v5, v14
	v_lshrrev_b32_e32 v14, 3, v30
	v_fmac_f32_e32 v24, v47, v32
	v_fmac_f32_e32 v27, v49, v40
	v_mul_hi_u32 v14, v14, s0
	v_add_f32_e32 v28, v24, v27
	v_sub_f32_e32 v32, v24, v27
	v_fma_f32 v28, -0.5, v28, v15
	v_mov_b32_e32 v33, v26
	v_fmac_f32_e32 v26, 0x3f5db3d7, v32
	v_sub_f32_e32 v0, v0, v6
	v_mov_b32_e32 v38, v29
	v_mov_b32_e32 v31, v28
	v_fmac_f32_e32 v28, 0xbf5db3d7, v9
	v_fmac_f32_e32 v38, 0x3f5db3d7, v0
	;; [unrolled: 1-line block ×3, first 2 shown]
	v_mul_f32_e32 v0, 0xbf5db3d7, v26
	v_fmac_f32_e32 v33, 0xbf5db3d7, v32
	v_mul_f32_e32 v32, 0.5, v26
	v_fmac_f32_e32 v0, 0.5, v28
	v_mul_lo_u32 v26, v14, s1
	v_sub_f32_e32 v8, v29, v0
	v_add_f32_e32 v14, v29, v0
	v_mov_b32_e32 v0, s11
	v_add_f32_e32 v10, v15, v24
	v_addc_co_u32_e32 v4, vcc, v0, v4, vcc
	v_lshlrev_b64 v[0:1], 3, v[1:2]
	v_add_f32_e32 v24, v10, v27
	v_sub_f32_e32 v10, v5, v24
	v_add_f32_e32 v24, v5, v24
	v_sub_u32_e32 v5, v30, v26
	v_add_co_u32_e32 v26, vcc, v3, v0
	v_fmac_f32_e32 v31, 0x3f5db3d7, v9
	v_mul_f32_e32 v34, -0.5, v33
	v_mul_f32_e32 v33, 0xbf5db3d7, v33
	v_addc_co_u32_e32 v27, vcc, v4, v1, vcc
	v_lshlrev_b32_e32 v0, 3, v5
	v_fmac_f32_e32 v32, 0x3f5db3d7, v28
	v_fmac_f32_e32 v33, -0.5, v31
	v_add_co_u32_e32 v2, vcc, v26, v0
	v_add_u32_e32 v0, 0x6c, v30
	v_fmac_f32_e32 v34, 0x3f5db3d7, v31
	v_sub_f32_e32 v9, v12, v32
	v_sub_f32_e32 v11, v37, v25
	v_add_f32_e32 v15, v12, v32
	v_add_f32_e32 v25, v37, v25
	;; [unrolled: 1-line block ×3, first 2 shown]
	v_addc_co_u32_e32 v3, vcc, 0, v27, vcc
	v_lshrrev_b32_e32 v4, 3, v0
	v_sub_f32_e32 v7, v13, v34
	v_add_f32_e32 v13, v13, v34
	global_store_dwordx2 v[2:3], v[24:25], off
	global_store_dwordx2 v[2:3], v[14:15], off offset:1728
	global_store_dwordx2 v[2:3], v[12:13], off offset:3456
	v_mul_hi_u32 v12, v4, s0
	v_add_co_u32_e32 v4, vcc, s2, v2
	v_mov_b32_e32 v1, 0
	v_mul_lo_u32 v13, v12, s1
	v_addc_co_u32_e32 v5, vcc, 0, v3, vcc
	s_movk_i32 s0, 0x510
	v_sub_u32_e32 v0, v0, v13
	global_store_dwordx2 v[4:5], v[10:11], off offset:1088
	global_store_dwordx2 v[4:5], v[8:9], off offset:2816
	v_mad_u64_u32 v[4:5], s[0:1], v12, s0, v[0:1]
	s_movk_i32 s2, 0x2000
	v_add_co_u32_e32 v2, vcc, s2, v2
	v_sub_f32_e32 v6, v38, v33
	v_addc_co_u32_e32 v3, vcc, 0, v3, vcc
	v_mov_b32_e32 v5, v1
	global_store_dwordx2 v[2:3], v[6:7], off offset:448
	v_lshlrev_b64 v[2:3], 3, v[4:5]
	v_add_u32_e32 v0, 0xd8, v4
	v_add_co_u32_e32 v2, vcc, v26, v2
	v_addc_co_u32_e32 v3, vcc, v27, v3, vcc
	global_store_dwordx2 v[2:3], v[50:51], off
	v_lshlrev_b64 v[2:3], 3, v[0:1]
	v_add_u32_e32 v0, 0x1b0, v4
	v_add_co_u32_e32 v2, vcc, v26, v2
	v_addc_co_u32_e32 v3, vcc, v27, v3, vcc
	global_store_dwordx2 v[2:3], v[35:36], off
	;; [unrolled: 5-line block ×4, first 2 shown]
	v_lshlrev_b64 v[2:3], 3, v[0:1]
	v_add_u32_e32 v0, 0x438, v4
	v_add_co_u32_e32 v2, vcc, v26, v2
	v_lshlrev_b64 v[0:1], 3, v[0:1]
	v_addc_co_u32_e32 v3, vcc, v27, v3, vcc
	v_add_co_u32_e32 v0, vcc, v26, v0
	v_addc_co_u32_e32 v1, vcc, v27, v1, vcc
	global_store_dwordx2 v[2:3], v[18:19], off
	global_store_dwordx2 v[0:1], v[20:21], off
.LBB0_15:
	s_endpgm
	.section	.rodata,"a",@progbits
	.p2align	6, 0x0
	.amdhsa_kernel fft_rtc_back_len1296_factors_6_6_6_6_wgs_108_tpt_108_halfLds_sp_op_CI_CI_unitstride_sbrr_dirReg
		.amdhsa_group_segment_fixed_size 0
		.amdhsa_private_segment_fixed_size 0
		.amdhsa_kernarg_size 104
		.amdhsa_user_sgpr_count 6
		.amdhsa_user_sgpr_private_segment_buffer 1
		.amdhsa_user_sgpr_dispatch_ptr 0
		.amdhsa_user_sgpr_queue_ptr 0
		.amdhsa_user_sgpr_kernarg_segment_ptr 1
		.amdhsa_user_sgpr_dispatch_id 0
		.amdhsa_user_sgpr_flat_scratch_init 0
		.amdhsa_user_sgpr_private_segment_size 0
		.amdhsa_uses_dynamic_stack 0
		.amdhsa_system_sgpr_private_segment_wavefront_offset 0
		.amdhsa_system_sgpr_workgroup_id_x 1
		.amdhsa_system_sgpr_workgroup_id_y 0
		.amdhsa_system_sgpr_workgroup_id_z 0
		.amdhsa_system_sgpr_workgroup_info 0
		.amdhsa_system_vgpr_workitem_id 0
		.amdhsa_next_free_vgpr 59
		.amdhsa_next_free_sgpr 28
		.amdhsa_reserve_vcc 1
		.amdhsa_reserve_flat_scratch 0
		.amdhsa_float_round_mode_32 0
		.amdhsa_float_round_mode_16_64 0
		.amdhsa_float_denorm_mode_32 3
		.amdhsa_float_denorm_mode_16_64 3
		.amdhsa_dx10_clamp 1
		.amdhsa_ieee_mode 1
		.amdhsa_fp16_overflow 0
		.amdhsa_exception_fp_ieee_invalid_op 0
		.amdhsa_exception_fp_denorm_src 0
		.amdhsa_exception_fp_ieee_div_zero 0
		.amdhsa_exception_fp_ieee_overflow 0
		.amdhsa_exception_fp_ieee_underflow 0
		.amdhsa_exception_fp_ieee_inexact 0
		.amdhsa_exception_int_div_zero 0
	.end_amdhsa_kernel
	.text
.Lfunc_end0:
	.size	fft_rtc_back_len1296_factors_6_6_6_6_wgs_108_tpt_108_halfLds_sp_op_CI_CI_unitstride_sbrr_dirReg, .Lfunc_end0-fft_rtc_back_len1296_factors_6_6_6_6_wgs_108_tpt_108_halfLds_sp_op_CI_CI_unitstride_sbrr_dirReg
                                        ; -- End function
	.section	.AMDGPU.csdata,"",@progbits
; Kernel info:
; codeLenInByte = 5876
; NumSgprs: 32
; NumVgprs: 59
; ScratchSize: 0
; MemoryBound: 0
; FloatMode: 240
; IeeeMode: 1
; LDSByteSize: 0 bytes/workgroup (compile time only)
; SGPRBlocks: 3
; VGPRBlocks: 14
; NumSGPRsForWavesPerEU: 32
; NumVGPRsForWavesPerEU: 59
; Occupancy: 4
; WaveLimiterHint : 1
; COMPUTE_PGM_RSRC2:SCRATCH_EN: 0
; COMPUTE_PGM_RSRC2:USER_SGPR: 6
; COMPUTE_PGM_RSRC2:TRAP_HANDLER: 0
; COMPUTE_PGM_RSRC2:TGID_X_EN: 1
; COMPUTE_PGM_RSRC2:TGID_Y_EN: 0
; COMPUTE_PGM_RSRC2:TGID_Z_EN: 0
; COMPUTE_PGM_RSRC2:TIDIG_COMP_CNT: 0
	.type	__hip_cuid_8d5b32ae912a696a,@object ; @__hip_cuid_8d5b32ae912a696a
	.section	.bss,"aw",@nobits
	.globl	__hip_cuid_8d5b32ae912a696a
__hip_cuid_8d5b32ae912a696a:
	.byte	0                               ; 0x0
	.size	__hip_cuid_8d5b32ae912a696a, 1

	.ident	"AMD clang version 19.0.0git (https://github.com/RadeonOpenCompute/llvm-project roc-6.4.0 25133 c7fe45cf4b819c5991fe208aaa96edf142730f1d)"
	.section	".note.GNU-stack","",@progbits
	.addrsig
	.addrsig_sym __hip_cuid_8d5b32ae912a696a
	.amdgpu_metadata
---
amdhsa.kernels:
  - .args:
      - .actual_access:  read_only
        .address_space:  global
        .offset:         0
        .size:           8
        .value_kind:     global_buffer
      - .offset:         8
        .size:           8
        .value_kind:     by_value
      - .actual_access:  read_only
        .address_space:  global
        .offset:         16
        .size:           8
        .value_kind:     global_buffer
      - .actual_access:  read_only
        .address_space:  global
        .offset:         24
        .size:           8
        .value_kind:     global_buffer
      - .actual_access:  read_only
        .address_space:  global
        .offset:         32
        .size:           8
        .value_kind:     global_buffer
      - .offset:         40
        .size:           8
        .value_kind:     by_value
      - .actual_access:  read_only
        .address_space:  global
        .offset:         48
        .size:           8
        .value_kind:     global_buffer
      - .actual_access:  read_only
        .address_space:  global
        .offset:         56
        .size:           8
        .value_kind:     global_buffer
      - .offset:         64
        .size:           4
        .value_kind:     by_value
      - .actual_access:  read_only
        .address_space:  global
        .offset:         72
        .size:           8
        .value_kind:     global_buffer
      - .actual_access:  read_only
        .address_space:  global
        .offset:         80
        .size:           8
        .value_kind:     global_buffer
      - .actual_access:  read_only
        .address_space:  global
        .offset:         88
        .size:           8
        .value_kind:     global_buffer
      - .actual_access:  write_only
        .address_space:  global
        .offset:         96
        .size:           8
        .value_kind:     global_buffer
    .group_segment_fixed_size: 0
    .kernarg_segment_align: 8
    .kernarg_segment_size: 104
    .language:       OpenCL C
    .language_version:
      - 2
      - 0
    .max_flat_workgroup_size: 108
    .name:           fft_rtc_back_len1296_factors_6_6_6_6_wgs_108_tpt_108_halfLds_sp_op_CI_CI_unitstride_sbrr_dirReg
    .private_segment_fixed_size: 0
    .sgpr_count:     32
    .sgpr_spill_count: 0
    .symbol:         fft_rtc_back_len1296_factors_6_6_6_6_wgs_108_tpt_108_halfLds_sp_op_CI_CI_unitstride_sbrr_dirReg.kd
    .uniform_work_group_size: 1
    .uses_dynamic_stack: false
    .vgpr_count:     59
    .vgpr_spill_count: 0
    .wavefront_size: 64
amdhsa.target:   amdgcn-amd-amdhsa--gfx906
amdhsa.version:
  - 1
  - 2
...

	.end_amdgpu_metadata
